;; amdgpu-corpus repo=ROCm/rocFFT kind=compiled arch=gfx1100 opt=O3
	.text
	.amdgcn_target "amdgcn-amd-amdhsa--gfx1100"
	.amdhsa_code_object_version 6
	.protected	fft_rtc_back_len110_factors_2_5_11_wgs_198_tpt_11_half_ip_CI_sbrr_dirReg ; -- Begin function fft_rtc_back_len110_factors_2_5_11_wgs_198_tpt_11_half_ip_CI_sbrr_dirReg
	.globl	fft_rtc_back_len110_factors_2_5_11_wgs_198_tpt_11_half_ip_CI_sbrr_dirReg
	.p2align	8
	.type	fft_rtc_back_len110_factors_2_5_11_wgs_198_tpt_11_half_ip_CI_sbrr_dirReg,@function
fft_rtc_back_len110_factors_2_5_11_wgs_198_tpt_11_half_ip_CI_sbrr_dirReg: ; @fft_rtc_back_len110_factors_2_5_11_wgs_198_tpt_11_half_ip_CI_sbrr_dirReg
; %bb.0:
	s_clause 0x1
	s_load_b64 s[12:13], s[0:1], 0x18
	s_load_b128 s[4:7], s[0:1], 0x0
	v_mul_u32_u24_e32 v1, 0x1746, v0
	v_mov_b32_e32 v3, 0
	s_load_b64 s[10:11], s[0:1], 0x50
	s_waitcnt lgkmcnt(0)
	s_load_b64 s[8:9], s[12:13], 0x0
	v_lshrrev_b32_e32 v4, 16, v1
	v_cmp_lt_u64_e64 s2, s[6:7], 2
	s_delay_alu instid0(VALU_DEP_2) | instskip(SKIP_4) | instid1(VALU_DEP_1)
	v_mad_u64_u32 v[1:2], null, s15, 18, v[4:5]
	v_mov_b32_e32 v5, 0
	v_mov_b32_e32 v6, 0
	;; [unrolled: 1-line block ×3, first 2 shown]
	s_and_b32 vcc_lo, exec_lo, s2
	v_dual_mov_b32 v10, v2 :: v_dual_mov_b32 v9, v1
	s_cbranch_vccnz .LBB0_8
; %bb.1:
	s_load_b64 s[2:3], s[0:1], 0x10
	v_dual_mov_b32 v5, 0 :: v_dual_mov_b32 v8, v2
	s_add_u32 s14, s12, 8
	v_dual_mov_b32 v6, 0 :: v_dual_mov_b32 v7, v1
	s_addc_u32 s15, s13, 0
	s_mov_b64 s[18:19], 1
	s_waitcnt lgkmcnt(0)
	s_add_u32 s16, s2, 8
	s_addc_u32 s17, s3, 0
.LBB0_2:                                ; =>This Inner Loop Header: Depth=1
	s_load_b64 s[20:21], s[16:17], 0x0
                                        ; implicit-def: $vgpr9_vgpr10
	s_mov_b32 s2, exec_lo
	s_waitcnt lgkmcnt(0)
	v_or_b32_e32 v4, s21, v8
	s_delay_alu instid0(VALU_DEP_1)
	v_cmpx_ne_u64_e32 0, v[3:4]
	s_xor_b32 s3, exec_lo, s2
	s_cbranch_execz .LBB0_4
; %bb.3:                                ;   in Loop: Header=BB0_2 Depth=1
	v_cvt_f32_u32_e32 v2, s20
	v_cvt_f32_u32_e32 v4, s21
	s_sub_u32 s2, 0, s20
	s_subb_u32 s22, 0, s21
	s_delay_alu instid0(VALU_DEP_1) | instskip(NEXT) | instid1(VALU_DEP_1)
	v_fmac_f32_e32 v2, 0x4f800000, v4
	v_rcp_f32_e32 v2, v2
	s_waitcnt_depctr 0xfff
	v_mul_f32_e32 v2, 0x5f7ffffc, v2
	s_delay_alu instid0(VALU_DEP_1) | instskip(NEXT) | instid1(VALU_DEP_1)
	v_mul_f32_e32 v4, 0x2f800000, v2
	v_trunc_f32_e32 v4, v4
	s_delay_alu instid0(VALU_DEP_1) | instskip(SKIP_1) | instid1(VALU_DEP_2)
	v_fmac_f32_e32 v2, 0xcf800000, v4
	v_cvt_u32_f32_e32 v4, v4
	v_cvt_u32_f32_e32 v2, v2
	s_delay_alu instid0(VALU_DEP_2) | instskip(NEXT) | instid1(VALU_DEP_2)
	v_mul_lo_u32 v9, s2, v4
	v_mul_hi_u32 v10, s2, v2
	v_mul_lo_u32 v11, s22, v2
	s_delay_alu instid0(VALU_DEP_2) | instskip(SKIP_1) | instid1(VALU_DEP_2)
	v_add_nc_u32_e32 v9, v10, v9
	v_mul_lo_u32 v10, s2, v2
	v_add_nc_u32_e32 v9, v9, v11
	s_delay_alu instid0(VALU_DEP_2) | instskip(NEXT) | instid1(VALU_DEP_2)
	v_mul_hi_u32 v11, v2, v10
	v_mul_lo_u32 v12, v2, v9
	v_mul_hi_u32 v13, v2, v9
	v_mul_hi_u32 v14, v4, v10
	v_mul_lo_u32 v10, v4, v10
	v_mul_hi_u32 v15, v4, v9
	v_mul_lo_u32 v9, v4, v9
	v_add_co_u32 v11, vcc_lo, v11, v12
	v_add_co_ci_u32_e32 v12, vcc_lo, 0, v13, vcc_lo
	s_delay_alu instid0(VALU_DEP_2) | instskip(NEXT) | instid1(VALU_DEP_2)
	v_add_co_u32 v10, vcc_lo, v11, v10
	v_add_co_ci_u32_e32 v10, vcc_lo, v12, v14, vcc_lo
	v_add_co_ci_u32_e32 v11, vcc_lo, 0, v15, vcc_lo
	s_delay_alu instid0(VALU_DEP_2) | instskip(NEXT) | instid1(VALU_DEP_2)
	v_add_co_u32 v9, vcc_lo, v10, v9
	v_add_co_ci_u32_e32 v10, vcc_lo, 0, v11, vcc_lo
	s_delay_alu instid0(VALU_DEP_2) | instskip(NEXT) | instid1(VALU_DEP_2)
	v_add_co_u32 v2, vcc_lo, v2, v9
	v_add_co_ci_u32_e32 v4, vcc_lo, v4, v10, vcc_lo
	s_delay_alu instid0(VALU_DEP_2) | instskip(SKIP_1) | instid1(VALU_DEP_3)
	v_mul_hi_u32 v9, s2, v2
	v_mul_lo_u32 v11, s22, v2
	v_mul_lo_u32 v10, s2, v4
	s_delay_alu instid0(VALU_DEP_1) | instskip(SKIP_1) | instid1(VALU_DEP_2)
	v_add_nc_u32_e32 v9, v9, v10
	v_mul_lo_u32 v10, s2, v2
	v_add_nc_u32_e32 v9, v9, v11
	s_delay_alu instid0(VALU_DEP_2) | instskip(NEXT) | instid1(VALU_DEP_2)
	v_mul_hi_u32 v11, v2, v10
	v_mul_lo_u32 v12, v2, v9
	v_mul_hi_u32 v13, v2, v9
	v_mul_hi_u32 v14, v4, v10
	v_mul_lo_u32 v10, v4, v10
	v_mul_hi_u32 v15, v4, v9
	v_mul_lo_u32 v9, v4, v9
	v_add_co_u32 v11, vcc_lo, v11, v12
	v_add_co_ci_u32_e32 v12, vcc_lo, 0, v13, vcc_lo
	s_delay_alu instid0(VALU_DEP_2) | instskip(NEXT) | instid1(VALU_DEP_2)
	v_add_co_u32 v10, vcc_lo, v11, v10
	v_add_co_ci_u32_e32 v10, vcc_lo, v12, v14, vcc_lo
	v_add_co_ci_u32_e32 v11, vcc_lo, 0, v15, vcc_lo
	s_delay_alu instid0(VALU_DEP_2) | instskip(NEXT) | instid1(VALU_DEP_2)
	v_add_co_u32 v9, vcc_lo, v10, v9
	v_add_co_ci_u32_e32 v10, vcc_lo, 0, v11, vcc_lo
	s_delay_alu instid0(VALU_DEP_2) | instskip(NEXT) | instid1(VALU_DEP_2)
	v_add_co_u32 v2, vcc_lo, v2, v9
	v_add_co_ci_u32_e32 v4, vcc_lo, v4, v10, vcc_lo
	s_delay_alu instid0(VALU_DEP_2) | instskip(SKIP_1) | instid1(VALU_DEP_3)
	v_mul_hi_u32 v15, v7, v2
	v_mad_u64_u32 v[11:12], null, v8, v2, 0
	v_mad_u64_u32 v[9:10], null, v7, v4, 0
	v_mad_u64_u32 v[13:14], null, v8, v4, 0
	s_delay_alu instid0(VALU_DEP_2) | instskip(NEXT) | instid1(VALU_DEP_3)
	v_add_co_u32 v2, vcc_lo, v15, v9
	v_add_co_ci_u32_e32 v4, vcc_lo, 0, v10, vcc_lo
	s_delay_alu instid0(VALU_DEP_2) | instskip(NEXT) | instid1(VALU_DEP_2)
	v_add_co_u32 v2, vcc_lo, v2, v11
	v_add_co_ci_u32_e32 v2, vcc_lo, v4, v12, vcc_lo
	v_add_co_ci_u32_e32 v4, vcc_lo, 0, v14, vcc_lo
	s_delay_alu instid0(VALU_DEP_2) | instskip(NEXT) | instid1(VALU_DEP_2)
	v_add_co_u32 v2, vcc_lo, v2, v13
	v_add_co_ci_u32_e32 v4, vcc_lo, 0, v4, vcc_lo
	s_delay_alu instid0(VALU_DEP_2) | instskip(SKIP_1) | instid1(VALU_DEP_3)
	v_mul_lo_u32 v11, s21, v2
	v_mad_u64_u32 v[9:10], null, s20, v2, 0
	v_mul_lo_u32 v12, s20, v4
	s_delay_alu instid0(VALU_DEP_2) | instskip(NEXT) | instid1(VALU_DEP_2)
	v_sub_co_u32 v9, vcc_lo, v7, v9
	v_add3_u32 v10, v10, v12, v11
	s_delay_alu instid0(VALU_DEP_1) | instskip(NEXT) | instid1(VALU_DEP_1)
	v_sub_nc_u32_e32 v11, v8, v10
	v_subrev_co_ci_u32_e64 v11, s2, s21, v11, vcc_lo
	v_add_co_u32 v12, s2, v2, 2
	s_delay_alu instid0(VALU_DEP_1) | instskip(SKIP_3) | instid1(VALU_DEP_3)
	v_add_co_ci_u32_e64 v13, s2, 0, v4, s2
	v_sub_co_u32 v14, s2, v9, s20
	v_sub_co_ci_u32_e32 v10, vcc_lo, v8, v10, vcc_lo
	v_subrev_co_ci_u32_e64 v11, s2, 0, v11, s2
	v_cmp_le_u32_e32 vcc_lo, s20, v14
	s_delay_alu instid0(VALU_DEP_3) | instskip(SKIP_1) | instid1(VALU_DEP_4)
	v_cmp_eq_u32_e64 s2, s21, v10
	v_cndmask_b32_e64 v14, 0, -1, vcc_lo
	v_cmp_le_u32_e32 vcc_lo, s21, v11
	v_cndmask_b32_e64 v15, 0, -1, vcc_lo
	v_cmp_le_u32_e32 vcc_lo, s20, v9
	;; [unrolled: 2-line block ×3, first 2 shown]
	v_cndmask_b32_e64 v16, 0, -1, vcc_lo
	v_cmp_eq_u32_e32 vcc_lo, s21, v11
	s_delay_alu instid0(VALU_DEP_2) | instskip(SKIP_3) | instid1(VALU_DEP_3)
	v_cndmask_b32_e64 v9, v16, v9, s2
	v_cndmask_b32_e32 v11, v15, v14, vcc_lo
	v_add_co_u32 v14, vcc_lo, v2, 1
	v_add_co_ci_u32_e32 v15, vcc_lo, 0, v4, vcc_lo
	v_cmp_ne_u32_e32 vcc_lo, 0, v11
	s_delay_alu instid0(VALU_DEP_2) | instskip(SKIP_1) | instid1(VALU_DEP_2)
	v_dual_cndmask_b32 v10, v15, v13 :: v_dual_cndmask_b32 v11, v14, v12
	v_cmp_ne_u32_e32 vcc_lo, 0, v9
	v_dual_cndmask_b32 v10, v4, v10 :: v_dual_cndmask_b32 v9, v2, v11
.LBB0_4:                                ;   in Loop: Header=BB0_2 Depth=1
	s_and_not1_saveexec_b32 s2, s3
	s_cbranch_execz .LBB0_6
; %bb.5:                                ;   in Loop: Header=BB0_2 Depth=1
	v_cvt_f32_u32_e32 v2, s20
	s_sub_i32 s3, 0, s20
	s_delay_alu instid0(VALU_DEP_1) | instskip(SKIP_2) | instid1(VALU_DEP_1)
	v_rcp_iflag_f32_e32 v2, v2
	s_waitcnt_depctr 0xfff
	v_mul_f32_e32 v2, 0x4f7ffffe, v2
	v_cvt_u32_f32_e32 v2, v2
	s_delay_alu instid0(VALU_DEP_1) | instskip(NEXT) | instid1(VALU_DEP_1)
	v_mul_lo_u32 v4, s3, v2
	v_mul_hi_u32 v4, v2, v4
	s_delay_alu instid0(VALU_DEP_1) | instskip(NEXT) | instid1(VALU_DEP_1)
	v_add_nc_u32_e32 v2, v2, v4
	v_mul_hi_u32 v2, v7, v2
	s_delay_alu instid0(VALU_DEP_1) | instskip(SKIP_1) | instid1(VALU_DEP_2)
	v_mul_lo_u32 v4, v2, s20
	v_add_nc_u32_e32 v9, 1, v2
	v_sub_nc_u32_e32 v4, v7, v4
	s_delay_alu instid0(VALU_DEP_1) | instskip(SKIP_1) | instid1(VALU_DEP_2)
	v_subrev_nc_u32_e32 v10, s20, v4
	v_cmp_le_u32_e32 vcc_lo, s20, v4
	v_cndmask_b32_e32 v4, v4, v10, vcc_lo
	v_mov_b32_e32 v10, v3
	v_cndmask_b32_e32 v2, v2, v9, vcc_lo
	s_delay_alu instid0(VALU_DEP_3) | instskip(NEXT) | instid1(VALU_DEP_2)
	v_cmp_le_u32_e32 vcc_lo, s20, v4
	v_add_nc_u32_e32 v9, 1, v2
	s_delay_alu instid0(VALU_DEP_1)
	v_cndmask_b32_e32 v9, v2, v9, vcc_lo
.LBB0_6:                                ;   in Loop: Header=BB0_2 Depth=1
	s_or_b32 exec_lo, exec_lo, s2
	s_load_b64 s[2:3], s[14:15], 0x0
	v_mul_lo_u32 v2, v10, s20
	s_delay_alu instid0(VALU_DEP_2)
	v_mul_lo_u32 v4, v9, s21
	v_mad_u64_u32 v[11:12], null, v9, s20, 0
	s_add_u32 s18, s18, 1
	s_addc_u32 s19, s19, 0
	s_add_u32 s14, s14, 8
	s_addc_u32 s15, s15, 0
	;; [unrolled: 2-line block ×3, first 2 shown]
	s_delay_alu instid0(VALU_DEP_1) | instskip(SKIP_1) | instid1(VALU_DEP_2)
	v_add3_u32 v2, v12, v4, v2
	v_sub_co_u32 v4, vcc_lo, v7, v11
	v_sub_co_ci_u32_e32 v2, vcc_lo, v8, v2, vcc_lo
	s_waitcnt lgkmcnt(0)
	s_delay_alu instid0(VALU_DEP_2) | instskip(NEXT) | instid1(VALU_DEP_2)
	v_mul_lo_u32 v11, s3, v4
	v_mul_lo_u32 v2, s2, v2
	v_mad_u64_u32 v[7:8], null, s2, v4, v[5:6]
	v_cmp_ge_u64_e64 s2, s[18:19], s[6:7]
	s_delay_alu instid0(VALU_DEP_1) | instskip(NEXT) | instid1(VALU_DEP_2)
	s_and_b32 vcc_lo, exec_lo, s2
	v_add3_u32 v6, v11, v8, v2
	s_delay_alu instid0(VALU_DEP_3)
	v_mov_b32_e32 v5, v7
	s_cbranch_vccnz .LBB0_8
; %bb.7:                                ;   in Loop: Header=BB0_2 Depth=1
	v_dual_mov_b32 v7, v9 :: v_dual_mov_b32 v8, v10
	s_branch .LBB0_2
.LBB0_8:
	s_lshl_b64 s[2:3], s[6:7], 3
	v_mul_hi_u32 v2, 0x1745d175, v0
	s_add_u32 s2, s12, s2
	s_addc_u32 s3, s13, s3
	s_load_b64 s[0:1], s[0:1], 0x20
	s_load_b64 s[2:3], s[2:3], 0x0
	s_delay_alu instid0(VALU_DEP_1) | instskip(NEXT) | instid1(VALU_DEP_1)
	v_mul_u32_u24_e32 v2, 11, v2
	v_sub_nc_u32_e32 v24, v0, v2
	s_delay_alu instid0(VALU_DEP_1)
	v_add_nc_u32_e32 v0, 11, v24
	s_waitcnt lgkmcnt(0)
	v_cmp_gt_u64_e32 vcc_lo, s[0:1], v[9:10]
	v_mul_lo_u32 v4, s2, v10
	v_mul_lo_u32 v7, s3, v9
	v_mad_u64_u32 v[2:3], null, s2, v9, v[5:6]
	v_cmp_le_u64_e64 s0, s[0:1], v[9:10]
	v_add_nc_u32_e32 v5, 22, v24
                                        ; implicit-def: $sgpr2
	s_delay_alu instid0(VALU_DEP_3) | instskip(SKIP_1) | instid1(VALU_DEP_4)
	v_add3_u32 v3, v7, v3, v4
	v_add_nc_u32_e32 v4, 44, v24
	s_and_saveexec_b32 s1, s0
	s_delay_alu instid0(SALU_CYCLE_1)
	s_xor_b32 s0, exec_lo, s1
; %bb.9:
	v_add_nc_u32_e32 v0, 11, v24
	v_add_nc_u32_e32 v5, 22, v24
	;; [unrolled: 1-line block ×3, first 2 shown]
	s_mov_b32 s2, 0
; %bb.10:
	s_or_saveexec_b32 s1, s0
	v_lshlrev_b64 v[8:9], 2, v[2:3]
	v_dual_mov_b32 v6, s2 :: v_dual_mov_b32 v7, s2
	v_dual_mov_b32 v2, s2 :: v_dual_mov_b32 v3, s2
	v_mov_b32_e32 v10, s2
                                        ; implicit-def: $vgpr11
                                        ; implicit-def: $vgpr15
                                        ; implicit-def: $vgpr12
                                        ; implicit-def: $vgpr13
                                        ; implicit-def: $vgpr14
	s_xor_b32 exec_lo, exec_lo, s1
	s_cbranch_execz .LBB0_12
; %bb.11:
	v_add_nc_u32_e32 v15, 55, v24
	v_mad_u64_u32 v[2:3], null, s8, v24, 0
	v_mad_u64_u32 v[10:11], null, s8, v0, 0
	s_delay_alu instid0(VALU_DEP_3)
	v_mad_u64_u32 v[6:7], null, s8, v15, 0
	v_add_nc_u32_e32 v17, 0x42, v24
	v_add_nc_u32_e32 v25, 0x4d, v24
	v_mad_u64_u32 v[12:13], null, s9, v24, v[3:4]
	v_add_co_u32 v23, s0, s10, v8
	v_mov_b32_e32 v3, v7
	v_mov_b32_e32 v7, v11
	v_mad_u64_u32 v[18:19], null, s8, v25, 0
	v_add_co_ci_u32_e64 v34, s0, s11, v9, s0
	s_delay_alu instid0(VALU_DEP_4)
	v_mad_u64_u32 v[13:14], null, s9, v15, v[3:4]
	v_mad_u64_u32 v[14:15], null, s8, v17, 0
	v_mov_b32_e32 v3, v12
	v_mad_u64_u32 v[11:12], null, s9, v0, v[7:8]
	v_add_nc_u32_e32 v29, 33, v24
	v_mov_b32_e32 v7, v13
	s_delay_alu instid0(VALU_DEP_4) | instskip(SKIP_1) | instid1(VALU_DEP_3)
	v_lshlrev_b64 v[2:3], 2, v[2:3]
	v_mov_b32_e32 v12, v15
	v_lshlrev_b64 v[6:7], 2, v[6:7]
	s_delay_alu instid0(VALU_DEP_2) | instskip(SKIP_2) | instid1(VALU_DEP_1)
	v_mad_u64_u32 v[15:16], null, s9, v17, v[12:13]
	v_mad_u64_u32 v[12:13], null, s8, v5, 0
	v_add_co_u32 v2, s0, v23, v2
	v_add_co_ci_u32_e64 v3, s0, v34, v3, s0
	v_add_co_u32 v16, s0, v23, v6
	s_delay_alu instid0(VALU_DEP_1) | instskip(SKIP_3) | instid1(VALU_DEP_2)
	v_add_co_ci_u32_e64 v17, s0, v34, v7, s0
	v_lshlrev_b64 v[6:7], 2, v[10:11]
	v_mov_b32_e32 v10, v13
	v_lshlrev_b64 v[14:15], 2, v[14:15]
	v_mad_u64_u32 v[20:21], null, s9, v5, v[10:11]
	s_delay_alu instid0(VALU_DEP_4)
	v_add_co_u32 v21, s0, v23, v6
	v_mad_u64_u32 v[10:11], null, s8, v29, 0
	v_add_co_ci_u32_e64 v22, s0, v34, v7, s0
	v_dual_mov_b32 v6, v19 :: v_dual_add_nc_u32 v7, 0x58, v24
	v_mov_b32_e32 v13, v20
	v_add_co_u32 v27, s0, v23, v14
	s_delay_alu instid0(VALU_DEP_1) | instskip(NEXT) | instid1(VALU_DEP_4)
	v_add_co_ci_u32_e64 v28, s0, v34, v15, s0
	v_mad_u64_u32 v[19:20], null, s9, v25, v[6:7]
	v_mad_u64_u32 v[25:26], null, s8, v7, 0
	v_mov_b32_e32 v6, v11
	v_lshlrev_b64 v[11:12], 2, v[12:13]
	v_add_nc_u32_e32 v20, 0x63, v24
	v_lshlrev_b64 v[18:19], 2, v[18:19]
	s_delay_alu instid0(VALU_DEP_4) | instskip(SKIP_2) | instid1(VALU_DEP_2)
	v_mad_u64_u32 v[13:14], null, s9, v29, v[6:7]
	v_mov_b32_e32 v6, v26
	v_mad_u64_u32 v[14:15], null, s8, v4, 0
	v_mad_u64_u32 v[29:30], null, s9, v7, v[6:7]
	v_add_co_u32 v30, s0, v23, v11
	v_mad_u64_u32 v[6:7], null, s8, v20, 0
	v_add_co_ci_u32_e64 v31, s0, v34, v12, s0
	s_delay_alu instid0(VALU_DEP_4) | instskip(SKIP_1) | instid1(VALU_DEP_1)
	v_mov_b32_e32 v26, v29
	v_dual_mov_b32 v12, v15 :: v_dual_mov_b32 v11, v13
	v_mad_u64_u32 v[32:33], null, s9, v4, v[12:13]
	v_add_co_u32 v12, s0, v23, v18
	s_delay_alu instid0(VALU_DEP_1) | instskip(SKIP_4) | instid1(VALU_DEP_4)
	v_add_co_ci_u32_e64 v13, s0, v34, v19, s0
	v_mad_u64_u32 v[18:19], null, s9, v20, v[7:8]
	v_lshlrev_b64 v[10:11], 2, v[10:11]
	v_mov_b32_e32 v15, v32
	v_lshlrev_b64 v[19:20], 2, v[25:26]
	v_mov_b32_e32 v7, v18
	s_delay_alu instid0(VALU_DEP_4) | instskip(NEXT) | instid1(VALU_DEP_4)
	v_add_co_u32 v10, s0, v23, v10
	v_lshlrev_b64 v[14:15], 2, v[14:15]
	v_add_co_ci_u32_e64 v11, s0, v34, v11, s0
	v_add_co_u32 v18, s0, v23, v19
	v_lshlrev_b64 v[6:7], 2, v[6:7]
	v_add_co_ci_u32_e64 v19, s0, v34, v20, s0
	v_add_co_u32 v25, s0, v23, v14
	s_delay_alu instid0(VALU_DEP_1) | instskip(NEXT) | instid1(VALU_DEP_4)
	v_add_co_ci_u32_e64 v26, s0, v34, v15, s0
	v_add_co_u32 v32, s0, v23, v6
	s_delay_alu instid0(VALU_DEP_1)
	v_add_co_ci_u32_e64 v33, s0, v34, v7, s0
	s_clause 0x9
	global_load_b32 v6, v[2:3], off
	global_load_b32 v15, v[16:17], off
	;; [unrolled: 1-line block ×10, first 2 shown]
.LBB0_12:
	s_or_b32 exec_lo, exec_lo, s1
	v_mul_hi_u32 v16, 0x38e38e39, v1
	s_waitcnt vmcnt(8)
	v_pk_add_f16 v15, v6, v15 neg_lo:[0,1] neg_hi:[0,1]
	v_lshrrev_b32_e32 v17, 16, v6
	s_waitcnt vmcnt(2)
	v_pk_add_f16 v12, v3, v12 neg_lo:[0,1] neg_hi:[0,1]
	s_waitcnt vmcnt(0)
	v_pk_add_f16 v11, v10, v11 neg_lo:[0,1] neg_hi:[0,1]
	v_and_b32_e32 v21, 1, v24
	v_lshrrev_b32_e32 v18, 16, v15
	v_fma_f16 v6, v6, 2.0, -v15
	v_lshrrev_b32_e32 v16, 2, v16
	v_pk_add_f16 v14, v2, v14 neg_lo:[0,1] neg_hi:[0,1]
	v_and_b32_e32 v22, 1, v0
	v_pk_add_f16 v13, v7, v13 neg_lo:[0,1] neg_hi:[0,1]
	v_and_b32_e32 v6, 0xffff, v6
	v_mul_lo_u32 v16, v16, 18
	v_pk_fma_f16 v2, v2, 2.0, v14 op_sel_hi:[1,0,1] neg_lo:[0,0,1] neg_hi:[0,0,1]
	v_cmp_gt_u32_e64 s0, 10, v24
	v_pk_fma_f16 v7, v7, 2.0, v13 op_sel_hi:[1,0,1] neg_lo:[0,0,1] neg_hi:[0,0,1]
	s_delay_alu instid0(VALU_DEP_4) | instskip(SKIP_2) | instid1(VALU_DEP_3)
	v_sub_nc_u32_e32 v1, v1, v16
	v_fma_f16 v16, v17, 2.0, -v18
	v_lshlrev_b32_e32 v17, 4, v22
	v_mul_u32_u24_e32 v1, 0x6e, v1
	s_delay_alu instid0(VALU_DEP_3) | instskip(NEXT) | instid1(VALU_DEP_2)
	v_lshlrev_b32_e32 v16, 16, v16
	v_lshl_add_u32 v23, v1, 2, 0
	v_pk_fma_f16 v1, v3, 2.0, v12 op_sel_hi:[1,0,1] neg_lo:[0,0,1] neg_hi:[0,0,1]
	v_pk_fma_f16 v3, v10, 2.0, v11 op_sel_hi:[1,0,1] neg_lo:[0,0,1] neg_hi:[0,0,1]
	v_lshlrev_b32_e32 v10, 4, v21
	v_or_b32_e32 v6, v16, v6
	v_lshl_add_u32 v25, v24, 3, v23
	v_lshl_add_u32 v26, v0, 3, v23
	;; [unrolled: 1-line block ×4, first 2 shown]
	v_lshlrev_b32_e32 v4, 2, v4
	ds_store_2addr_b32 v25, v6, v15 offset1:1
	ds_store_2addr_b32 v26, v2, v14 offset1:1
	;; [unrolled: 1-line block ×3, first 2 shown]
	ds_store_2addr_b32 v25, v1, v12 offset0:66 offset1:67
	ds_store_2addr_b32 v28, v3, v11 offset1:1
	s_waitcnt lgkmcnt(0)
	s_barrier
	buffer_gl0_inv
	s_clause 0x1
	global_load_b128 v[13:16], v10, s[4:5]
	global_load_b128 v[17:20], v17, s[4:5]
	v_lshlrev_b32_e32 v2, 2, v24
	v_lshlrev_b32_e32 v3, 2, v5
	v_lshrrev_b32_e32 v5, 1, v24
	v_lshrrev_b32_e32 v6, 1, v0
	v_lshlrev_b32_e32 v0, 2, v0
	v_add_nc_u32_e32 v1, v23, v2
	s_delay_alu instid0(VALU_DEP_4) | instskip(NEXT) | instid1(VALU_DEP_4)
	v_mul_u32_u24_e32 v10, 10, v5
	v_mul_lo_u32 v29, v6, 10
	s_delay_alu instid0(VALU_DEP_4)
	v_sub_nc_u32_e32 v5, v26, v0
	v_sub_nc_u32_e32 v0, v25, v2
	;; [unrolled: 1-line block ×4, first 2 shown]
	ds_load_b32 v12, v1
	ds_load_b32 v11, v5
	ds_load_2addr_b32 v[2:3], v0 offset0:33 offset1:55
	ds_load_2addr_b32 v[4:5], v0 offset0:66 offset1:77
	;; [unrolled: 1-line block ×3, first 2 shown]
	ds_load_b32 v25, v25
	ds_load_b32 v26, v26
	v_or_b32_e32 v10, v10, v21
	v_or_b32_e32 v21, v29, v22
	s_delay_alu instid0(VALU_DEP_2)
	v_lshl_add_u32 v22, v10, 2, v23
	ds_load_u16 v10, v0 offset:134
	v_lshl_add_u32 v21, v21, 2, v23
	s_waitcnt vmcnt(0) lgkmcnt(0)
	s_barrier
	buffer_gl0_inv
	v_lshrrev_b32_e32 v27, 16, v11
	v_lshrrev_b32_e32 v23, 16, v3
	;; [unrolled: 1-line block ×17, first 2 shown]
	v_mul_f16_e32 v43, v35, v31
	v_mul_f16_e32 v35, v35, v25
	;; [unrolled: 1-line block ×16, first 2 shown]
	v_fmac_f16_e32 v43, v13, v25
	v_fma_f16 v13, v13, v31, -v35
	v_fmac_f16_e32 v44, v14, v26
	v_fma_f16 v14, v14, v32, -v36
	v_fmac_f16_e32 v45, v15, v4
	v_fma_f16 v4, v15, v33, -v37
	v_fmac_f16_e32 v46, v16, v6
	v_fma_f16 v6, v16, v34, -v38
	v_fmac_f16_e32 v48, v3, v18
	v_fma_f16 v3, v23, v18, -v40
	v_fmac_f16_e32 v49, v5, v19
	v_fma_f16 v5, v29, v19, -v41
	v_fmac_f16_e32 v47, v17, v2
	v_fma_f16 v2, v10, v17, -v39
	v_fmac_f16_e32 v50, v7, v20
	v_fma_f16 v7, v30, v20, -v42
	v_add_f16_e32 v10, v12, v43
	v_add_f16_e32 v15, v44, v45
	v_sub_f16_e32 v17, v43, v44
	v_sub_f16_e32 v18, v46, v45
	v_add_f16_e32 v26, v28, v13
	v_add_f16_e32 v29, v14, v4
	v_sub_f16_e32 v30, v13, v14
	v_sub_f16_e32 v31, v6, v4
	v_add_f16_e32 v38, v48, v49
	v_add_f16_e32 v54, v3, v5
	;; [unrolled: 1-line block ×4, first 2 shown]
	v_sub_f16_e32 v23, v44, v43
	v_sub_f16_e32 v35, v43, v46
	v_add_f16_e32 v43, v47, v50
	v_add_f16_e32 v58, v2, v7
	v_sub_f16_e32 v16, v13, v6
	v_sub_f16_e32 v20, v14, v4
	;; [unrolled: 1-line block ×5, first 2 shown]
	v_add_f16_e32 v37, v11, v47
	v_sub_f16_e32 v39, v2, v7
	v_sub_f16_e32 v41, v47, v48
	v_sub_f16_e32 v51, v48, v47
	v_sub_f16_e32 v47, v47, v50
	v_add_f16_e32 v10, v10, v44
	v_fma_f16 v13, -0.5, v15, v12
	v_add_f16_e32 v15, v17, v18
	v_add_f16_e32 v17, v26, v14
	v_fma_f16 v29, -0.5, v29, v28
	v_add_f16_e32 v44, v30, v31
	v_fma_f16 v14, -0.5, v38, v11
	v_fma_f16 v30, -0.5, v54, v27
	v_fmac_f16_e32 v12, -0.5, v19
	v_fmac_f16_e32 v28, -0.5, v32
	v_sub_f16_e32 v25, v45, v46
	v_add_f16_e32 v53, v27, v2
	v_sub_f16_e32 v40, v3, v5
	v_sub_f16_e32 v55, v48, v49
	v_fmac_f16_e32 v11, -0.5, v43
	v_fmac_f16_e32 v27, -0.5, v58
	v_sub_f16_e32 v42, v50, v49
	v_sub_f16_e32 v56, v2, v3
	v_sub_f16_e32 v57, v7, v5
	v_add_f16_e32 v60, v33, v34
	v_fmamk_f16 v18, v16, 0xbb9c, v13
	v_add_f16_e32 v4, v17, v4
	v_fmamk_f16 v31, v35, 0x3b9c, v29
	v_fmamk_f16 v17, v39, 0xbb9c, v14
	;; [unrolled: 1-line block ×4, first 2 shown]
	v_fmac_f16_e32 v12, 0xbb9c, v20
	v_fmamk_f16 v32, v36, 0xbb9c, v28
	v_fmac_f16_e32 v28, 0x3b9c, v36
	v_fmac_f16_e32 v13, 0x3b9c, v16
	;; [unrolled: 1-line block ×3, first 2 shown]
	v_sub_f16_e32 v2, v3, v2
	v_add_f16_e32 v23, v23, v25
	v_add_f16_e32 v25, v37, v48
	v_add_f16_e32 v3, v53, v3
	v_sub_f16_e32 v52, v49, v50
	v_sub_f16_e32 v59, v5, v7
	v_add_f16_e32 v26, v10, v45
	v_fmac_f16_e32 v14, 0x3b9c, v39
	v_fmamk_f16 v10, v40, 0x3b9c, v11
	v_fmac_f16_e32 v11, 0xbb9c, v40
	v_fmac_f16_e32 v30, 0xbb9c, v47
	v_fmamk_f16 v34, v55, 0xbb9c, v27
	v_fmac_f16_e32 v27, 0x3b9c, v55
	v_add_f16_e32 v37, v41, v42
	v_add_f16_e32 v41, v56, v57
	v_fmac_f16_e32 v18, 0xb8b4, v20
	v_fmac_f16_e32 v31, 0x38b4, v36
	v_fmac_f16_e32 v17, 0xb8b4, v40
	v_fmac_f16_e32 v33, 0x38b4, v55
	v_fmac_f16_e32 v19, 0xb8b4, v16
	v_fmac_f16_e32 v12, 0x38b4, v16
	v_fmac_f16_e32 v32, 0x38b4, v35
	v_fmac_f16_e32 v28, 0xb8b4, v35
	v_fmac_f16_e32 v13, 0x38b4, v20
	v_fmac_f16_e32 v29, 0xb8b4, v36
	v_add_f16_e32 v42, v25, v49
	v_add_f16_e32 v3, v3, v5
	;; [unrolled: 1-line block ×4, first 2 shown]
	v_fmac_f16_e32 v14, 0x38b4, v40
	v_fmac_f16_e32 v10, 0xb8b4, v39
	;; [unrolled: 1-line block ×6, first 2 shown]
	v_add_f16_e32 v25, v26, v46
	v_add_f16_e32 v26, v4, v6
	v_fmac_f16_e32 v18, 0x34f2, v15
	v_fmac_f16_e32 v31, 0x34f2, v44
	;; [unrolled: 1-line block ×10, first 2 shown]
	v_add_f16_e32 v16, v42, v50
	v_add_f16_e32 v35, v3, v7
	v_fmac_f16_e32 v14, 0x34f2, v37
	v_fmac_f16_e32 v10, 0x34f2, v38
	;; [unrolled: 1-line block ×6, first 2 shown]
	v_pack_b32_f16 v2, v25, v26
	v_pack_b32_f16 v4, v18, v31
	;; [unrolled: 1-line block ×10, first 2 shown]
	ds_store_2addr_b32 v22, v2, v4 offset1:2
	ds_store_2addr_b32 v22, v5, v6 offset0:4 offset1:6
	ds_store_b32 v22, v7 offset:32
	ds_store_2addr_b32 v21, v3, v15 offset1:2
	ds_store_2addr_b32 v21, v20, v23 offset0:4 offset1:6
	ds_store_b32 v21, v36 offset:32
	s_waitcnt lgkmcnt(0)
	s_barrier
	buffer_gl0_inv
                                        ; implicit-def: $vgpr36
	s_and_saveexec_b32 s1, s0
	s_cbranch_execnz .LBB0_15
; %bb.13:
	s_or_b32 exec_lo, exec_lo, s1
	s_and_b32 s0, vcc_lo, s0
	s_delay_alu instid0(SALU_CYCLE_1)
	s_and_saveexec_b32 s1, s0
	s_cbranch_execnz .LBB0_16
.LBB0_14:
	s_endpgm
.LBB0_15:
	ds_load_b32 v25, v1
	ds_load_2addr_b32 v[10:11], v0 offset0:70 offset1:80
	ds_load_2addr_b32 v[14:15], v0 offset0:90 offset1:100
	;; [unrolled: 1-line block ×5, first 2 shown]
	s_waitcnt lgkmcnt(5)
	v_lshrrev_b32_e32 v26, 16, v25
	s_waitcnt lgkmcnt(4)
	v_lshrrev_b32_e32 v27, 16, v11
	;; [unrolled: 2-line block ×3, first 2 shown]
	v_lshrrev_b32_e32 v36, 16, v15
	s_waitcnt lgkmcnt(2)
	v_lshrrev_b32_e32 v31, 16, v18
	v_lshrrev_b32_e32 v32, 16, v19
	s_waitcnt lgkmcnt(1)
	v_lshrrev_b32_e32 v28, 16, v12
	;; [unrolled: 3-line block ×3, first 2 shown]
	v_lshrrev_b32_e32 v33, 16, v17
	v_lshrrev_b32_e32 v34, 16, v10
	s_or_b32 exec_lo, exec_lo, s1
	s_and_b32 s0, vcc_lo, s0
	s_delay_alu instid0(SALU_CYCLE_1)
	s_and_saveexec_b32 s1, s0
	s_cbranch_execz .LBB0_14
.LBB0_16:
	v_add_nc_u32_e32 v50, 30, v24
	v_mul_u32_u24_e32 v0, 10, v24
	v_mad_u64_u32 v[22:23], null, s8, v24, 0
	v_add_nc_u32_e32 v52, 50, v24
	s_delay_alu instid0(VALU_DEP_4) | instskip(SKIP_1) | instid1(VALU_DEP_4)
	v_mad_u64_u32 v[41:42], null, s8, v50, 0
	v_add_nc_u32_e32 v49, 20, v24
	v_mad_u64_u32 v[45:46], null, s9, v24, v[23:24]
	s_delay_alu instid0(VALU_DEP_2) | instskip(SKIP_2) | instid1(VALU_DEP_1)
	v_mad_u64_u32 v[39:40], null, s8, v49, 0
	v_lshlrev_b32_e32 v4, 2, v0
	v_add_nc_u32_e32 v48, 10, v24
	v_mad_u64_u32 v[37:38], null, s8, v48, 0
	s_delay_alu instid0(VALU_DEP_4)
	v_mov_b32_e32 v23, v40
	s_clause 0x2
	global_load_b128 v[0:3], v4, s[4:5] offset:32
	global_load_b64 v[20:21], v4, s[4:5] offset:64
	global_load_b128 v[4:7], v4, s[4:5] offset:48
	v_mov_b32_e32 v40, v42
	v_mad_u64_u32 v[46:47], null, s9, v48, v[38:39]
	v_add_nc_u32_e32 v51, 40, v24
	v_mad_u64_u32 v[47:48], null, s9, v49, v[23:24]
	s_delay_alu instid0(VALU_DEP_4) | instskip(NEXT) | instid1(VALU_DEP_4)
	v_mad_u64_u32 v[48:49], null, s9, v50, v[40:41]
	v_dual_mov_b32 v23, v45 :: v_dual_mov_b32 v38, v46
	s_delay_alu instid0(VALU_DEP_4) | instskip(NEXT) | instid1(VALU_DEP_4)
	v_mad_u64_u32 v[43:44], null, s8, v51, 0
	v_mov_b32_e32 v40, v47
	s_delay_alu instid0(VALU_DEP_3)
	v_lshlrev_b64 v[22:23], 2, v[22:23]
	v_mov_b32_e32 v42, v48
	v_add_co_u32 v49, vcc_lo, s10, v8
	v_add_co_ci_u32_e32 v50, vcc_lo, s11, v9, vcc_lo
	v_mad_u64_u32 v[45:46], null, s9, v51, v[44:45]
	v_lshlrev_b64 v[37:38], 2, v[37:38]
	s_delay_alu instid0(VALU_DEP_4) | instskip(NEXT) | instid1(VALU_DEP_4)
	v_add_co_u32 v22, vcc_lo, v49, v22
	v_add_co_ci_u32_e32 v23, vcc_lo, v50, v23, vcc_lo
	v_lshlrev_b64 v[39:40], 2, v[39:40]
	s_delay_alu instid0(VALU_DEP_4)
	v_add_co_u32 v37, vcc_lo, v49, v37
	v_mad_u64_u32 v[8:9], null, s8, v52, 0
	v_add_co_ci_u32_e32 v38, vcc_lo, v50, v38, vcc_lo
	v_lshlrev_b64 v[41:42], 2, v[41:42]
	s_waitcnt vmcnt(2)
	v_lshrrev_b32_e32 v44, 16, v0
	s_waitcnt vmcnt(1)
	v_lshrrev_b32_e32 v53, 16, v21
	v_lshrrev_b32_e32 v46, 16, v1
	;; [unrolled: 1-line block ×4, first 2 shown]
	s_waitcnt vmcnt(0)
	v_lshrrev_b32_e32 v57, 16, v7
	v_mul_f16_e32 v58, v31, v44
	v_mul_f16_e32 v59, v36, v53
	;; [unrolled: 1-line block ×4, first 2 shown]
	v_lshrrev_b32_e32 v47, 16, v2
	v_mul_f16_e32 v60, v32, v46
	v_mul_f16_e32 v61, v30, v51
	;; [unrolled: 1-line block ×8, first 2 shown]
	v_fmac_f16_e32 v58, v18, v0
	v_fmac_f16_e32 v59, v15, v21
	v_fma_f16 v15, v36, v21, -v53
	v_fma_f16 v0, v31, v0, -v44
	v_lshrrev_b32_e32 v54, 16, v4
	v_lshrrev_b32_e32 v55, 16, v5
	;; [unrolled: 1-line block ×3, first 2 shown]
	v_mul_f16_e32 v62, v28, v47
	v_mul_f16_e32 v47, v12, v47
	v_fmac_f16_e32 v60, v19, v1
	v_fmac_f16_e32 v61, v14, v20
	v_fma_f16 v14, v30, v20, -v51
	v_fma_f16 v1, v32, v1, -v46
	v_fmac_f16_e32 v63, v11, v7
	v_fma_f16 v7, v27, v7, -v57
	v_fmac_f16_e32 v64, v13, v3
	v_fma_f16 v3, v29, v3, -v48
	v_add_f16_e32 v11, v0, v15
	v_sub_f16_e32 v27, v0, v15
	v_add_f16_e32 v0, v26, v0
	v_add_f16_e32 v29, v25, v58
	v_mul_f16_e32 v65, v34, v56
	v_mul_f16_e32 v56, v10, v56
	;; [unrolled: 1-line block ×6, first 2 shown]
	v_fmac_f16_e32 v62, v12, v2
	v_fma_f16 v2, v28, v2, -v47
	v_add_f16_e32 v13, v1, v14
	v_sub_f16_e32 v30, v1, v14
	v_add_f16_e32 v0, v0, v1
	v_add_f16_e32 v1, v29, v60
	v_fmac_f16_e32 v65, v10, v6
	v_fma_f16 v6, v34, v6, -v56
	v_fmac_f16_e32 v66, v16, v4
	v_fmac_f16_e32 v67, v17, v5
	v_fma_f16 v5, v33, v5, -v55
	v_fma_f16 v4, v35, v4, -v54
	v_add_f16_e32 v0, v0, v2
	v_add_f16_e32 v1, v1, v62
	v_sub_f16_e32 v10, v58, v59
	v_sub_f16_e32 v12, v60, v61
	;; [unrolled: 1-line block ×3, first 2 shown]
	v_add_f16_e32 v17, v2, v7
	v_sub_f16_e32 v18, v64, v65
	v_add_f16_e32 v19, v3, v6
	v_sub_f16_e32 v20, v66, v67
	v_add_f16_e32 v21, v4, v5
	v_add_f16_e32 v1, v1, v64
	;; [unrolled: 1-line block ×4, first 2 shown]
	v_sub_f16_e32 v32, v2, v7
	v_sub_f16_e32 v34, v3, v6
	;; [unrolled: 1-line block ×3, first 2 shown]
	v_mul_f16_e32 v46, 0xbb47, v10
	v_mul_f16_e32 v47, 0xba0c, v12
	v_mul_f16_e32 v48, 0x3482, v16
	v_mul_f16_e32 v51, 0x3beb, v18
	v_mul_f16_e32 v53, 0x3853, v20
	v_mul_f16_e32 v54, 0xbb47, v27
	v_mul_f16_e32 v55, 0xbbeb, v10
	v_mul_f16_e32 v56, 0x3482, v12
	v_mul_f16_e32 v57, 0x3b47, v16
	v_mul_f16_e32 v58, 0xb853, v18
	v_mul_f16_e32 v68, 0xba0c, v20
	v_mul_f16_e32 v69, 0xbbeb, v27
	v_mul_f16_e32 v70, 0xba0c, v10
	v_mul_f16_e32 v71, 0x3beb, v12
	v_mul_f16_e32 v72, 0xb853, v16
	v_mul_f16_e32 v73, 0xb482, v18
	v_mul_f16_e32 v74, 0x3b47, v20
	v_mul_f16_e32 v75, 0xba0c, v27
	v_mul_f16_e32 v76, 0xb482, v10
	v_mul_f16_e32 v77, 0x3853, v12
	v_mul_f16_e32 v78, 0xba0c, v16
	v_mul_f16_e32 v79, 0x3b47, v18
	v_mul_f16_e32 v80, 0xbbeb, v20
	v_mul_f16_e32 v81, 0x3abb, v11
	v_mul_f16_e32 v82, 0x36a6, v13
	v_mul_f16_e32 v83, 0xb08e, v17
	v_mul_f16_e32 v84, 0xb93d, v19
	v_mul_f16_e32 v85, 0xbbad, v21
	v_mul_f16_e32 v86, 0xb482, v27
	v_mul_f16_e32 v27, 0xb853, v27
	v_add_f16_e32 v1, v1, v66
	v_add_f16_e32 v0, v0, v4
	v_add_f16_e32 v31, v60, v61
	v_add_f16_e32 v33, v62, v63
	v_add_f16_e32 v35, v64, v65
	v_add_f16_e32 v44, v66, v67
	v_mul_f16_e32 v29, 0x3853, v30
	v_mul_f16_e32 v60, 0xba0c, v30
	;; [unrolled: 1-line block ×20, first 2 shown]
	v_fmamk_f16 v101, v11, 0x36a6, v46
	v_fmamk_f16 v102, v13, 0xb93d, v47
	;; [unrolled: 1-line block ×16, first 2 shown]
	v_fma_f16 v76, v11, 0xbbad, -v76
	v_fma_f16 v70, v11, 0xb93d, -v70
	v_fma_f16 v55, v11, 0xb08e, -v55
	v_fma_f16 v11, v11, 0x36a6, -v46
	v_fmamk_f16 v46, v13, 0x3abb, v77
	v_fma_f16 v77, v13, 0x3abb, -v77
	v_fma_f16 v71, v13, 0xb08e, -v71
	v_fma_f16 v56, v13, 0xbbad, -v56
	v_fma_f16 v13, v13, 0xb93d, -v47
	v_fmamk_f16 v47, v17, 0xb93d, v78
	;; [unrolled: 5-line block ×5, first 2 shown]
	v_fmac_f16_e32 v81, 0xb853, v10
	v_fmamk_f16 v10, v12, 0x3b47, v82
	v_fmac_f16_e32 v82, 0xbb47, v12
	v_fmamk_f16 v12, v16, 0x3beb, v83
	;; [unrolled: 2-line block ×4, first 2 shown]
	v_fmac_f16_e32 v85, 0xb482, v20
	v_fma_f16 v20, v28, 0xbbad, -v86
	v_fma_f16 v117, v28, 0xb93d, -v75
	;; [unrolled: 1-line block ×4, first 2 shown]
	v_fmamk_f16 v120, v28, 0x3abb, v27
	v_add_f16_e32 v1, v1, v67
	v_add_f16_e32 v0, v0, v5
	v_fmac_f16_e32 v86, 0xbbad, v28
	v_fmac_f16_e32 v75, 0xb93d, v28
	v_fmac_f16_e32 v69, 0xb08e, v28
	v_fmac_f16_e32 v54, 0x36a6, v28
	v_fma_f16 v27, v28, 0x3abb, -v27
	v_fma_f16 v28, v31, 0x3abb, -v29
	v_fmac_f16_e32 v29, 0x3abb, v31
	v_fma_f16 v121, v31, 0xb08e, -v87
	v_fmac_f16_e32 v87, 0xb08e, v31
	;; [unrolled: 2-line block ×4, first 2 shown]
	v_fmamk_f16 v124, v31, 0x36a6, v30
	v_fma_f16 v30, v31, 0x36a6, -v30
	v_fma_f16 v2, v33, 0xb93d, -v89
	v_fmac_f16_e32 v89, 0xb93d, v33
	v_fma_f16 v31, v33, 0x3abb, -v91
	v_fmac_f16_e32 v91, 0x3abb, v33
	;; [unrolled: 2-line block ×4, first 2 shown]
	v_fmamk_f16 v126, v33, 0xb08e, v32
	v_fma_f16 v32, v33, 0xb08e, -v32
	v_fma_f16 v33, v35, 0x36a6, -v96
	v_fmac_f16_e32 v96, 0x36a6, v35
	v_fma_f16 v127, v35, 0xbbad, -v95
	v_fmac_f16_e32 v95, 0xbbad, v35
	;; [unrolled: 2-line block ×4, first 2 shown]
	v_fma_f16 v130, 0xb93d, v35, v34
	v_fma_f16 v34, v35, 0xb93d, -v34
	v_fma_f16 v35, v44, 0xb08e, -v100
	v_fmac_f16_e32 v100, 0xb08e, v44
	v_fma_f16 v131, v44, 0x36a6, -v99
	v_fmac_f16_e32 v99, 0x36a6, v44
	;; [unrolled: 2-line block ×4, first 2 shown]
	v_fma_f16 v134, 0xbbad, v44, v36
	v_fma_f16 v36, v44, 0xbbad, -v36
	v_add_f16_e32 v3, v26, v101
	v_add_f16_e32 v44, v26, v106
	;; [unrolled: 1-line block ×55, first 2 shown]
	v_add_f16_e64 v17, v26, v129
	v_add_f16_e32 v25, v27, v109
	v_add_f16_e64 v26, v30, v128
	v_add_f16_e32 v27, v44, v114
	v_add_f16_e32 v30, v31, v127
	v_add_f16_e32 v31, v46, v48
	v_add_f16_e32 v2, v2, v33
	v_add_f16_e32 v10, v10, v16
	v_add_f16_e64 v12, v12, v130
	v_add_f16_e32 v54, v55, v57
	v_add_f16_e32 v55, v56, v92
	;; [unrolled: 1-line block ×8, first 2 shown]
	v_add_f16_e64 v25, v26, v132
	v_add_f16_e32 v26, v27, v115
	v_add_f16_e64 v27, v30, v131
	v_add_f16_e32 v30, v31, v51
	v_add_f16_e32 v31, v2, v35
	;; [unrolled: 1-line block ×3, first 2 shown]
	v_add_f16_e64 v3, v12, v134
	v_add_f16_e32 v28, v76, v77
	v_add_f16_e32 v29, v86, v29
	;; [unrolled: 1-line block ×7, first 2 shown]
	v_pack_b32_f16 v0, v1, v0
	v_pack_b32_f16 v1, v3, v2
	v_add_f16_e32 v20, v28, v78
	v_add_f16_e32 v28, v29, v89
	;; [unrolled: 1-line block ×10, first 2 shown]
	v_mov_b32_e32 v44, v45
	s_clause 0x1
	global_store_b32 v[22:23], v0, off
	global_store_b32 v[37:38], v1, off
	v_add_co_u32 v0, vcc_lo, v49, v39
	v_add_f16_e32 v29, v29, v73
	v_add_f16_e32 v32, v47, v95
	v_add_co_ci_u32_e32 v1, vcc_lo, v50, v40, vcc_lo
	v_add_f16_e32 v12, v33, v68
	v_add_f16_e32 v18, v4, v85
	;; [unrolled: 1-line block ×3, first 2 shown]
	v_mov_b32_e32 v4, v9
	v_add_co_u32 v5, vcc_lo, v49, v41
	v_pack_b32_f16 v11, v2, v6
	v_lshlrev_b64 v[2:3], 2, v[43:44]
	v_add_f16_e32 v7, v29, v74
	v_add_f16_e32 v14, v32, v99
	v_add_co_ci_u32_e32 v6, vcc_lo, v50, v42, vcc_lo
	v_mad_u64_u32 v[9:10], null, s9, v52, v[4:5]
	v_pack_b32_f16 v4, v15, v12
	v_add_co_u32 v2, vcc_lo, v49, v2
	v_add_co_ci_u32_e32 v3, vcc_lo, v50, v3, vcc_lo
	v_pack_b32_f16 v7, v14, v7
	s_clause 0x1
	global_store_b32 v[0:1], v11, off
	global_store_b32 v[5:6], v4, off
	v_add_nc_u32_e32 v10, 60, v24
	v_add_nc_u32_e32 v11, 0x46, v24
	v_or_b32_e32 v12, 0x50, v24
	global_store_b32 v[2:3], v7, off
	v_add_f16_e32 v20, v20, v79
	v_mad_u64_u32 v[2:3], null, s8, v10, 0
	v_mad_u64_u32 v[4:5], null, s8, v11, 0
	;; [unrolled: 1-line block ×3, first 2 shown]
	v_add_f16_e32 v28, v28, v96
	v_lshlrev_b64 v[0:1], 2, v[8:9]
	v_add_nc_u32_e32 v14, 0x5a, v24
	v_add_f16_e32 v20, v20, v80
	v_mad_u64_u32 v[8:9], null, s9, v10, v[3:4]
	v_add_f16_e32 v28, v28, v100
	v_mad_u64_u32 v[9:10], null, s9, v11, v[5:6]
	v_mov_b32_e32 v5, v7
	v_mad_u64_u32 v[10:11], null, s8, v14, 0
	v_add_co_u32 v0, vcc_lo, v49, v0
	v_add_nc_u32_e32 v15, 0x64, v24
	v_add_co_ci_u32_e32 v1, vcc_lo, v50, v1, vcc_lo
	v_pack_b32_f16 v13, v28, v20
	v_mov_b32_e32 v3, v8
	v_mad_u64_u32 v[7:8], null, s9, v12, v[5:6]
	v_mov_b32_e32 v5, v9
	v_mad_u64_u32 v[8:9], null, s8, v15, 0
	global_store_b32 v[0:1], v13, off
	v_lshlrev_b64 v[0:1], 2, v[2:3]
	v_mov_b32_e32 v2, v11
	v_add_f16_e64 v17, v17, v133
	s_delay_alu instid0(VALU_DEP_2)
	v_mad_u64_u32 v[11:12], null, s9, v14, v[2:3]
	v_lshlrev_b64 v[3:4], 2, v[4:5]
	v_mov_b32_e32 v2, v9
	v_add_co_u32 v0, vcc_lo, v49, v0
	v_lshlrev_b64 v[5:6], 2, v[6:7]
	v_add_co_ci_u32_e32 v1, vcc_lo, v50, v1, vcc_lo
	s_delay_alu instid0(VALU_DEP_4)
	v_mad_u64_u32 v[12:13], null, s9, v15, v[2:3]
	v_add_co_u32 v2, vcc_lo, v49, v3
	v_add_co_ci_u32_e32 v3, vcc_lo, v50, v4, vcc_lo
	v_lshlrev_b64 v[10:11], 2, v[10:11]
	v_add_co_u32 v4, vcc_lo, v49, v5
	v_mov_b32_e32 v9, v12
	v_add_co_ci_u32_e32 v5, vcc_lo, v50, v6, vcc_lo
	v_pack_b32_f16 v14, v31, v30
	v_pack_b32_f16 v13, v27, v26
	s_delay_alu instid0(VALU_DEP_4) | instskip(SKIP_3) | instid1(VALU_DEP_4)
	v_lshlrev_b64 v[6:7], 2, v[8:9]
	v_add_co_u32 v8, vcc_lo, v49, v10
	v_add_co_ci_u32_e32 v9, vcc_lo, v50, v11, vcc_lo
	v_pack_b32_f16 v12, v25, v19
	v_add_co_u32 v6, vcc_lo, v49, v6
	v_pack_b32_f16 v10, v17, v16
	v_add_co_ci_u32_e32 v7, vcc_lo, v50, v7, vcc_lo
	v_pack_b32_f16 v11, v21, v18
	s_clause 0x4
	global_store_b32 v[0:1], v14, off
	global_store_b32 v[2:3], v13, off
	;; [unrolled: 1-line block ×5, first 2 shown]
	s_nop 0
	s_sendmsg sendmsg(MSG_DEALLOC_VGPRS)
	s_endpgm
	.section	.rodata,"a",@progbits
	.p2align	6, 0x0
	.amdhsa_kernel fft_rtc_back_len110_factors_2_5_11_wgs_198_tpt_11_half_ip_CI_sbrr_dirReg
		.amdhsa_group_segment_fixed_size 0
		.amdhsa_private_segment_fixed_size 0
		.amdhsa_kernarg_size 88
		.amdhsa_user_sgpr_count 15
		.amdhsa_user_sgpr_dispatch_ptr 0
		.amdhsa_user_sgpr_queue_ptr 0
		.amdhsa_user_sgpr_kernarg_segment_ptr 1
		.amdhsa_user_sgpr_dispatch_id 0
		.amdhsa_user_sgpr_private_segment_size 0
		.amdhsa_wavefront_size32 1
		.amdhsa_uses_dynamic_stack 0
		.amdhsa_enable_private_segment 0
		.amdhsa_system_sgpr_workgroup_id_x 1
		.amdhsa_system_sgpr_workgroup_id_y 0
		.amdhsa_system_sgpr_workgroup_id_z 0
		.amdhsa_system_sgpr_workgroup_info 0
		.amdhsa_system_vgpr_workitem_id 0
		.amdhsa_next_free_vgpr 135
		.amdhsa_next_free_sgpr 23
		.amdhsa_reserve_vcc 1
		.amdhsa_float_round_mode_32 0
		.amdhsa_float_round_mode_16_64 0
		.amdhsa_float_denorm_mode_32 3
		.amdhsa_float_denorm_mode_16_64 3
		.amdhsa_dx10_clamp 1
		.amdhsa_ieee_mode 1
		.amdhsa_fp16_overflow 0
		.amdhsa_workgroup_processor_mode 1
		.amdhsa_memory_ordered 1
		.amdhsa_forward_progress 0
		.amdhsa_shared_vgpr_count 0
		.amdhsa_exception_fp_ieee_invalid_op 0
		.amdhsa_exception_fp_denorm_src 0
		.amdhsa_exception_fp_ieee_div_zero 0
		.amdhsa_exception_fp_ieee_overflow 0
		.amdhsa_exception_fp_ieee_underflow 0
		.amdhsa_exception_fp_ieee_inexact 0
		.amdhsa_exception_int_div_zero 0
	.end_amdhsa_kernel
	.text
.Lfunc_end0:
	.size	fft_rtc_back_len110_factors_2_5_11_wgs_198_tpt_11_half_ip_CI_sbrr_dirReg, .Lfunc_end0-fft_rtc_back_len110_factors_2_5_11_wgs_198_tpt_11_half_ip_CI_sbrr_dirReg
                                        ; -- End function
	.section	.AMDGPU.csdata,"",@progbits
; Kernel info:
; codeLenInByte = 6780
; NumSgprs: 25
; NumVgprs: 135
; ScratchSize: 0
; MemoryBound: 0
; FloatMode: 240
; IeeeMode: 1
; LDSByteSize: 0 bytes/workgroup (compile time only)
; SGPRBlocks: 3
; VGPRBlocks: 16
; NumSGPRsForWavesPerEU: 25
; NumVGPRsForWavesPerEU: 135
; Occupancy: 10
; WaveLimiterHint : 1
; COMPUTE_PGM_RSRC2:SCRATCH_EN: 0
; COMPUTE_PGM_RSRC2:USER_SGPR: 15
; COMPUTE_PGM_RSRC2:TRAP_HANDLER: 0
; COMPUTE_PGM_RSRC2:TGID_X_EN: 1
; COMPUTE_PGM_RSRC2:TGID_Y_EN: 0
; COMPUTE_PGM_RSRC2:TGID_Z_EN: 0
; COMPUTE_PGM_RSRC2:TIDIG_COMP_CNT: 0
	.text
	.p2alignl 7, 3214868480
	.fill 96, 4, 3214868480
	.type	__hip_cuid_874c62383e8ec72f,@object ; @__hip_cuid_874c62383e8ec72f
	.section	.bss,"aw",@nobits
	.globl	__hip_cuid_874c62383e8ec72f
__hip_cuid_874c62383e8ec72f:
	.byte	0                               ; 0x0
	.size	__hip_cuid_874c62383e8ec72f, 1

	.ident	"AMD clang version 19.0.0git (https://github.com/RadeonOpenCompute/llvm-project roc-6.4.0 25133 c7fe45cf4b819c5991fe208aaa96edf142730f1d)"
	.section	".note.GNU-stack","",@progbits
	.addrsig
	.addrsig_sym __hip_cuid_874c62383e8ec72f
	.amdgpu_metadata
---
amdhsa.kernels:
  - .args:
      - .actual_access:  read_only
        .address_space:  global
        .offset:         0
        .size:           8
        .value_kind:     global_buffer
      - .offset:         8
        .size:           8
        .value_kind:     by_value
      - .actual_access:  read_only
        .address_space:  global
        .offset:         16
        .size:           8
        .value_kind:     global_buffer
      - .actual_access:  read_only
        .address_space:  global
        .offset:         24
        .size:           8
        .value_kind:     global_buffer
      - .offset:         32
        .size:           8
        .value_kind:     by_value
      - .actual_access:  read_only
        .address_space:  global
        .offset:         40
        .size:           8
        .value_kind:     global_buffer
      - .actual_access:  read_only
        .address_space:  global
        .offset:         48
        .size:           8
        .value_kind:     global_buffer
      - .offset:         56
        .size:           4
        .value_kind:     by_value
      - .actual_access:  read_only
        .address_space:  global
        .offset:         64
        .size:           8
        .value_kind:     global_buffer
      - .actual_access:  read_only
        .address_space:  global
        .offset:         72
        .size:           8
        .value_kind:     global_buffer
      - .address_space:  global
        .offset:         80
        .size:           8
        .value_kind:     global_buffer
    .group_segment_fixed_size: 0
    .kernarg_segment_align: 8
    .kernarg_segment_size: 88
    .language:       OpenCL C
    .language_version:
      - 2
      - 0
    .max_flat_workgroup_size: 198
    .name:           fft_rtc_back_len110_factors_2_5_11_wgs_198_tpt_11_half_ip_CI_sbrr_dirReg
    .private_segment_fixed_size: 0
    .sgpr_count:     25
    .sgpr_spill_count: 0
    .symbol:         fft_rtc_back_len110_factors_2_5_11_wgs_198_tpt_11_half_ip_CI_sbrr_dirReg.kd
    .uniform_work_group_size: 1
    .uses_dynamic_stack: false
    .vgpr_count:     135
    .vgpr_spill_count: 0
    .wavefront_size: 32
    .workgroup_processor_mode: 1
amdhsa.target:   amdgcn-amd-amdhsa--gfx1100
amdhsa.version:
  - 1
  - 2
...

	.end_amdgpu_metadata
